;; amdgpu-corpus repo=ROCm/rocFFT kind=compiled arch=gfx1201 opt=O3
	.text
	.amdgcn_target "amdgcn-amd-amdhsa--gfx1201"
	.amdhsa_code_object_version 6
	.protected	fft_rtc_fwd_len686_factors_7_7_7_2_wgs_49_tpt_49_sp_op_CI_CI_sbrr_dirReg ; -- Begin function fft_rtc_fwd_len686_factors_7_7_7_2_wgs_49_tpt_49_sp_op_CI_CI_sbrr_dirReg
	.globl	fft_rtc_fwd_len686_factors_7_7_7_2_wgs_49_tpt_49_sp_op_CI_CI_sbrr_dirReg
	.p2align	8
	.type	fft_rtc_fwd_len686_factors_7_7_7_2_wgs_49_tpt_49_sp_op_CI_CI_sbrr_dirReg,@function
fft_rtc_fwd_len686_factors_7_7_7_2_wgs_49_tpt_49_sp_op_CI_CI_sbrr_dirReg: ; @fft_rtc_fwd_len686_factors_7_7_7_2_wgs_49_tpt_49_sp_op_CI_CI_sbrr_dirReg
; %bb.0:
	s_clause 0x2
	s_load_b128 s[12:15], s[0:1], 0x18
	s_load_b128 s[8:11], s[0:1], 0x0
	;; [unrolled: 1-line block ×3, first 2 shown]
	v_mul_u32_u24_e32 v1, 0x53a, v0
	v_mov_b32_e32 v3, 0
	v_mov_b32_e32 v19, 0
	;; [unrolled: 1-line block ×3, first 2 shown]
	s_wait_kmcnt 0x0
	s_load_b64 s[18:19], s[12:13], 0x0
	s_load_b64 s[16:17], s[14:15], 0x0
	v_lshrrev_b32_e32 v1, 16, v1
	v_cmp_lt_u64_e64 s2, s[10:11], 2
	s_delay_alu instid0(VALU_DEP_2) | instskip(NEXT) | instid1(VALU_DEP_2)
	v_dual_mov_b32 v8, v3 :: v_dual_add_nc_u32 v7, ttmp9, v1
	s_and_b32 vcc_lo, exec_lo, s2
	s_cbranch_vccnz .LBB0_8
; %bb.1:
	s_load_b64 s[2:3], s[0:1], 0x10
	v_mov_b32_e32 v19, 0
	v_mov_b32_e32 v20, 0
	s_delay_alu instid0(VALU_DEP_2)
	v_mov_b32_e32 v1, v19
	s_add_nc_u64 s[20:21], s[14:15], 8
	s_add_nc_u64 s[22:23], s[12:13], 8
	s_mov_b64 s[24:25], 1
	v_mov_b32_e32 v2, v20
	s_wait_kmcnt 0x0
	s_add_nc_u64 s[26:27], s[2:3], 8
	s_mov_b32 s3, 0
.LBB0_2:                                ; =>This Inner Loop Header: Depth=1
	s_load_b64 s[28:29], s[26:27], 0x0
                                        ; implicit-def: $vgpr5_vgpr6
	s_mov_b32 s2, exec_lo
	s_wait_kmcnt 0x0
	v_or_b32_e32 v4, s29, v8
	s_delay_alu instid0(VALU_DEP_1)
	v_cmpx_ne_u64_e32 0, v[3:4]
	s_wait_alu 0xfffe
	s_xor_b32 s30, exec_lo, s2
	s_cbranch_execz .LBB0_4
; %bb.3:                                ;   in Loop: Header=BB0_2 Depth=1
	s_cvt_f32_u32 s2, s28
	s_cvt_f32_u32 s31, s29
	s_sub_nc_u64 s[36:37], 0, s[28:29]
	s_wait_alu 0xfffe
	s_delay_alu instid0(SALU_CYCLE_1) | instskip(SKIP_1) | instid1(SALU_CYCLE_2)
	s_fmamk_f32 s2, s31, 0x4f800000, s2
	s_wait_alu 0xfffe
	v_s_rcp_f32 s2, s2
	s_delay_alu instid0(TRANS32_DEP_1) | instskip(SKIP_1) | instid1(SALU_CYCLE_2)
	s_mul_f32 s2, s2, 0x5f7ffffc
	s_wait_alu 0xfffe
	s_mul_f32 s31, s2, 0x2f800000
	s_wait_alu 0xfffe
	s_delay_alu instid0(SALU_CYCLE_2) | instskip(SKIP_1) | instid1(SALU_CYCLE_2)
	s_trunc_f32 s31, s31
	s_wait_alu 0xfffe
	s_fmamk_f32 s2, s31, 0xcf800000, s2
	s_cvt_u32_f32 s35, s31
	s_wait_alu 0xfffe
	s_delay_alu instid0(SALU_CYCLE_1) | instskip(SKIP_1) | instid1(SALU_CYCLE_2)
	s_cvt_u32_f32 s34, s2
	s_wait_alu 0xfffe
	s_mul_u64 s[38:39], s[36:37], s[34:35]
	s_wait_alu 0xfffe
	s_mul_hi_u32 s41, s34, s39
	s_mul_i32 s40, s34, s39
	s_mul_hi_u32 s2, s34, s38
	s_mul_i32 s33, s35, s38
	s_wait_alu 0xfffe
	s_add_nc_u64 s[40:41], s[2:3], s[40:41]
	s_mul_hi_u32 s31, s35, s38
	s_mul_hi_u32 s42, s35, s39
	s_add_co_u32 s2, s40, s33
	s_wait_alu 0xfffe
	s_add_co_ci_u32 s2, s41, s31
	s_mul_i32 s38, s35, s39
	s_add_co_ci_u32 s39, s42, 0
	s_wait_alu 0xfffe
	s_add_nc_u64 s[38:39], s[2:3], s[38:39]
	s_wait_alu 0xfffe
	v_add_co_u32 v4, s2, s34, s38
	s_delay_alu instid0(VALU_DEP_1) | instskip(SKIP_1) | instid1(VALU_DEP_1)
	s_cmp_lg_u32 s2, 0
	s_add_co_ci_u32 s35, s35, s39
	v_readfirstlane_b32 s34, v4
	s_wait_alu 0xfffe
	s_delay_alu instid0(VALU_DEP_1)
	s_mul_u64 s[36:37], s[36:37], s[34:35]
	s_wait_alu 0xfffe
	s_mul_hi_u32 s39, s34, s37
	s_mul_i32 s38, s34, s37
	s_mul_hi_u32 s2, s34, s36
	s_mul_i32 s33, s35, s36
	s_wait_alu 0xfffe
	s_add_nc_u64 s[38:39], s[2:3], s[38:39]
	s_mul_hi_u32 s31, s35, s36
	s_mul_hi_u32 s34, s35, s37
	s_wait_alu 0xfffe
	s_add_co_u32 s2, s38, s33
	s_add_co_ci_u32 s2, s39, s31
	s_mul_i32 s36, s35, s37
	s_add_co_ci_u32 s37, s34, 0
	s_wait_alu 0xfffe
	s_add_nc_u64 s[36:37], s[2:3], s[36:37]
	s_wait_alu 0xfffe
	v_add_co_u32 v6, s2, v4, s36
	s_delay_alu instid0(VALU_DEP_1) | instskip(SKIP_1) | instid1(VALU_DEP_1)
	s_cmp_lg_u32 s2, 0
	s_add_co_ci_u32 s2, s35, s37
	v_mul_hi_u32 v13, v7, v6
	s_wait_alu 0xfffe
	v_mad_co_u64_u32 v[4:5], null, v7, s2, 0
	v_mad_co_u64_u32 v[9:10], null, v8, v6, 0
	;; [unrolled: 1-line block ×3, first 2 shown]
	s_delay_alu instid0(VALU_DEP_3) | instskip(SKIP_1) | instid1(VALU_DEP_4)
	v_add_co_u32 v4, vcc_lo, v13, v4
	s_wait_alu 0xfffd
	v_add_co_ci_u32_e32 v5, vcc_lo, 0, v5, vcc_lo
	s_delay_alu instid0(VALU_DEP_2) | instskip(SKIP_1) | instid1(VALU_DEP_2)
	v_add_co_u32 v4, vcc_lo, v4, v9
	s_wait_alu 0xfffd
	v_add_co_ci_u32_e32 v4, vcc_lo, v5, v10, vcc_lo
	s_wait_alu 0xfffd
	v_add_co_ci_u32_e32 v5, vcc_lo, 0, v12, vcc_lo
	s_delay_alu instid0(VALU_DEP_2) | instskip(SKIP_1) | instid1(VALU_DEP_2)
	v_add_co_u32 v9, vcc_lo, v4, v11
	s_wait_alu 0xfffd
	v_add_co_ci_u32_e32 v6, vcc_lo, 0, v5, vcc_lo
	s_delay_alu instid0(VALU_DEP_2) | instskip(SKIP_1) | instid1(VALU_DEP_3)
	v_mul_lo_u32 v10, s29, v9
	v_mad_co_u64_u32 v[4:5], null, s28, v9, 0
	v_mul_lo_u32 v11, s28, v6
	s_delay_alu instid0(VALU_DEP_2) | instskip(NEXT) | instid1(VALU_DEP_2)
	v_sub_co_u32 v4, vcc_lo, v7, v4
	v_add3_u32 v5, v5, v11, v10
	s_delay_alu instid0(VALU_DEP_1) | instskip(SKIP_1) | instid1(VALU_DEP_1)
	v_sub_nc_u32_e32 v10, v8, v5
	s_wait_alu 0xfffd
	v_subrev_co_ci_u32_e64 v10, s2, s29, v10, vcc_lo
	v_add_co_u32 v11, s2, v9, 2
	s_wait_alu 0xf1ff
	v_add_co_ci_u32_e64 v12, s2, 0, v6, s2
	v_sub_co_u32 v13, s2, v4, s28
	v_sub_co_ci_u32_e32 v5, vcc_lo, v8, v5, vcc_lo
	s_wait_alu 0xf1ff
	v_subrev_co_ci_u32_e64 v10, s2, 0, v10, s2
	s_delay_alu instid0(VALU_DEP_3) | instskip(NEXT) | instid1(VALU_DEP_3)
	v_cmp_le_u32_e32 vcc_lo, s28, v13
	v_cmp_eq_u32_e64 s2, s29, v5
	s_wait_alu 0xfffd
	v_cndmask_b32_e64 v13, 0, -1, vcc_lo
	v_cmp_le_u32_e32 vcc_lo, s29, v10
	s_wait_alu 0xfffd
	v_cndmask_b32_e64 v14, 0, -1, vcc_lo
	v_cmp_le_u32_e32 vcc_lo, s28, v4
	;; [unrolled: 3-line block ×3, first 2 shown]
	s_wait_alu 0xfffd
	v_cndmask_b32_e64 v15, 0, -1, vcc_lo
	v_cmp_eq_u32_e32 vcc_lo, s29, v10
	s_wait_alu 0xf1ff
	s_delay_alu instid0(VALU_DEP_2)
	v_cndmask_b32_e64 v4, v15, v4, s2
	s_wait_alu 0xfffd
	v_cndmask_b32_e32 v10, v14, v13, vcc_lo
	v_add_co_u32 v13, vcc_lo, v9, 1
	s_wait_alu 0xfffd
	v_add_co_ci_u32_e32 v14, vcc_lo, 0, v6, vcc_lo
	s_delay_alu instid0(VALU_DEP_3) | instskip(SKIP_1) | instid1(VALU_DEP_2)
	v_cmp_ne_u32_e32 vcc_lo, 0, v10
	s_wait_alu 0xfffd
	v_dual_cndmask_b32 v5, v14, v12 :: v_dual_cndmask_b32 v10, v13, v11
	v_cmp_ne_u32_e32 vcc_lo, 0, v4
	s_wait_alu 0xfffd
	s_delay_alu instid0(VALU_DEP_2)
	v_dual_cndmask_b32 v6, v6, v5 :: v_dual_cndmask_b32 v5, v9, v10
.LBB0_4:                                ;   in Loop: Header=BB0_2 Depth=1
	s_wait_alu 0xfffe
	s_and_not1_saveexec_b32 s2, s30
	s_cbranch_execz .LBB0_6
; %bb.5:                                ;   in Loop: Header=BB0_2 Depth=1
	v_cvt_f32_u32_e32 v4, s28
	s_sub_co_i32 s30, 0, s28
	s_delay_alu instid0(VALU_DEP_1) | instskip(NEXT) | instid1(TRANS32_DEP_1)
	v_rcp_iflag_f32_e32 v4, v4
	v_mul_f32_e32 v4, 0x4f7ffffe, v4
	s_delay_alu instid0(VALU_DEP_1) | instskip(SKIP_1) | instid1(VALU_DEP_1)
	v_cvt_u32_f32_e32 v4, v4
	s_wait_alu 0xfffe
	v_mul_lo_u32 v5, s30, v4
	s_delay_alu instid0(VALU_DEP_1) | instskip(NEXT) | instid1(VALU_DEP_1)
	v_mul_hi_u32 v5, v4, v5
	v_add_nc_u32_e32 v4, v4, v5
	s_delay_alu instid0(VALU_DEP_1) | instskip(NEXT) | instid1(VALU_DEP_1)
	v_mul_hi_u32 v4, v7, v4
	v_mul_lo_u32 v5, v4, s28
	v_add_nc_u32_e32 v6, 1, v4
	s_delay_alu instid0(VALU_DEP_2) | instskip(NEXT) | instid1(VALU_DEP_1)
	v_sub_nc_u32_e32 v5, v7, v5
	v_subrev_nc_u32_e32 v9, s28, v5
	v_cmp_le_u32_e32 vcc_lo, s28, v5
	s_wait_alu 0xfffd
	s_delay_alu instid0(VALU_DEP_2) | instskip(NEXT) | instid1(VALU_DEP_1)
	v_dual_cndmask_b32 v5, v5, v9 :: v_dual_cndmask_b32 v4, v4, v6
	v_cmp_le_u32_e32 vcc_lo, s28, v5
	s_delay_alu instid0(VALU_DEP_2) | instskip(SKIP_1) | instid1(VALU_DEP_1)
	v_add_nc_u32_e32 v6, 1, v4
	s_wait_alu 0xfffd
	v_dual_cndmask_b32 v5, v4, v6 :: v_dual_mov_b32 v6, v3
.LBB0_6:                                ;   in Loop: Header=BB0_2 Depth=1
	s_wait_alu 0xfffe
	s_or_b32 exec_lo, exec_lo, s2
	s_delay_alu instid0(VALU_DEP_1) | instskip(NEXT) | instid1(VALU_DEP_2)
	v_mul_lo_u32 v4, v6, s28
	v_mul_lo_u32 v11, v5, s29
	s_load_b64 s[30:31], s[22:23], 0x0
	v_mad_co_u64_u32 v[9:10], null, v5, s28, 0
	s_load_b64 s[28:29], s[20:21], 0x0
	s_add_nc_u64 s[24:25], s[24:25], 1
	s_add_nc_u64 s[20:21], s[20:21], 8
	s_wait_alu 0xfffe
	v_cmp_ge_u64_e64 s2, s[24:25], s[10:11]
	s_add_nc_u64 s[22:23], s[22:23], 8
	s_add_nc_u64 s[26:27], s[26:27], 8
	v_add3_u32 v4, v10, v11, v4
	v_sub_co_u32 v7, vcc_lo, v7, v9
	s_wait_alu 0xfffd
	s_delay_alu instid0(VALU_DEP_2) | instskip(SKIP_2) | instid1(VALU_DEP_1)
	v_sub_co_ci_u32_e32 v4, vcc_lo, v8, v4, vcc_lo
	s_and_b32 vcc_lo, exec_lo, s2
	s_wait_kmcnt 0x0
	v_mul_lo_u32 v8, s30, v4
	v_mul_lo_u32 v9, s31, v7
	v_mad_co_u64_u32 v[19:20], null, s30, v7, v[19:20]
	v_mul_lo_u32 v4, s28, v4
	v_mul_lo_u32 v10, s29, v7
	v_mad_co_u64_u32 v[1:2], null, s28, v7, v[1:2]
	s_delay_alu instid0(VALU_DEP_4) | instskip(NEXT) | instid1(VALU_DEP_2)
	v_add3_u32 v20, v9, v20, v8
	v_add3_u32 v2, v10, v2, v4
	s_wait_alu 0xfffe
	s_cbranch_vccnz .LBB0_9
; %bb.7:                                ;   in Loop: Header=BB0_2 Depth=1
	v_dual_mov_b32 v8, v6 :: v_dual_mov_b32 v7, v5
	s_branch .LBB0_2
.LBB0_8:
	v_dual_mov_b32 v1, v19 :: v_dual_mov_b32 v2, v20
	s_delay_alu instid0(VALU_DEP_2)
	v_dual_mov_b32 v5, v7 :: v_dual_mov_b32 v6, v8
.LBB0_9:
	s_load_b64 s[0:1], s[0:1], 0x28
	v_mul_hi_u32 v21, 0x539782a, v0
	s_lshl_b64 s[10:11], s[10:11], 3
                                        ; implicit-def: $vgpr3
                                        ; implicit-def: $vgpr11
                                        ; implicit-def: $vgpr13
                                        ; implicit-def: $vgpr15
                                        ; implicit-def: $vgpr17
                                        ; implicit-def: $vgpr7
                                        ; implicit-def: $vgpr9
	s_wait_kmcnt 0x0
	v_cmp_gt_u64_e32 vcc_lo, s[0:1], v[5:6]
	v_cmp_le_u64_e64 s0, s[0:1], v[5:6]
	s_delay_alu instid0(VALU_DEP_1)
	s_and_saveexec_b32 s1, s0
	s_wait_alu 0xfffe
	s_xor_b32 s0, exec_lo, s1
; %bb.10:
	v_mul_u32_u24_e32 v3, 49, v21
                                        ; implicit-def: $vgpr21
                                        ; implicit-def: $vgpr19_vgpr20
	s_delay_alu instid0(VALU_DEP_1) | instskip(SKIP_1) | instid1(VALU_DEP_1)
	v_sub_nc_u32_e32 v3, v0, v3
	v_mov_b32_e32 v4, 0
                                        ; implicit-def: $vgpr0
	v_dual_mov_b32 v12, v4 :: v_dual_add_nc_u32 v11, 49, v3
	v_dual_mov_b32 v14, v4 :: v_dual_add_nc_u32 v13, 0x62, v3
	v_add_nc_u32_e32 v15, 0xc4, v3
	v_dual_mov_b32 v8, v4 :: v_dual_add_nc_u32 v17, 0x126, v3
	v_dual_mov_b32 v16, v4 :: v_dual_add_nc_u32 v7, 0x93, v3
	;; [unrolled: 1-line block ×3, first 2 shown]
	v_mov_b32_e32 v18, v4
; %bb.11:
	s_wait_alu 0xfffe
	s_or_saveexec_b32 s1, s0
	s_add_nc_u64 s[2:3], s[14:15], s[10:11]
	s_wait_alu 0xfffe
	s_xor_b32 exec_lo, exec_lo, s1
	s_cbranch_execz .LBB0_13
; %bb.12:
	v_mul_u32_u24_e32 v3, 49, v21
	s_add_nc_u64 s[10:11], s[12:13], s[10:11]
	v_lshlrev_b64_e32 v[18:19], 3, v[19:20]
	s_load_b64 s[10:11], s[10:11], 0x0
	s_delay_alu instid0(VALU_DEP_2) | instskip(NEXT) | instid1(VALU_DEP_1)
	v_sub_nc_u32_e32 v3, v0, v3
	v_mad_co_u64_u32 v[16:17], null, s18, v3, 0
	s_delay_alu instid0(VALU_DEP_1) | instskip(NEXT) | instid1(VALU_DEP_1)
	v_dual_mov_b32 v0, v17 :: v_dual_add_nc_u32 v11, 49, v3
	v_mad_co_u64_u32 v[20:21], null, s18, v11, 0
	v_add_nc_u32_e32 v13, 0x62, v3
	s_wait_kmcnt 0x0
	v_mul_lo_u32 v10, s11, v5
	v_mul_lo_u32 v12, s10, v6
	v_mad_co_u64_u32 v[24:25], null, s10, v5, 0
	v_mad_co_u64_u32 v[8:9], null, s19, v3, v[0:1]
	v_mov_b32_e32 v0, v21
	v_mad_co_u64_u32 v[22:23], null, s18, v13, 0
	v_add_nc_u32_e32 v7, 0x93, v3
	v_add3_u32 v25, v25, v12, v10
	s_delay_alu instid0(VALU_DEP_4) | instskip(SKIP_2) | instid1(VALU_DEP_4)
	v_mad_co_u64_u32 v[14:15], null, s19, v11, v[0:1]
	v_add_nc_u32_e32 v15, 0xc4, v3
	v_dual_mov_b32 v4, v23 :: v_dual_add_nc_u32 v9, 0xf5, v3
	v_lshlrev_b64_e32 v[24:25], 3, v[24:25]
	v_mad_co_u64_u32 v[26:27], null, s18, v7, 0
	v_mov_b32_e32 v17, v8
	s_delay_alu instid0(VALU_DEP_4) | instskip(NEXT) | instid1(VALU_DEP_4)
	v_mad_co_u64_u32 v[28:29], null, s19, v13, v[4:5]
	v_add_co_u32 v4, s0, s4, v24
	s_wait_alu 0xf1ff
	v_add_co_ci_u32_e64 v8, s0, s5, v25, s0
	v_mov_b32_e32 v0, v27
	v_lshlrev_b64_e32 v[16:17], 3, v[16:17]
	v_mov_b32_e32 v23, v28
	v_add_co_u32 v10, s0, v4, v18
	s_wait_alu 0xf1ff
	v_add_co_ci_u32_e64 v8, s0, v8, v19, s0
	s_delay_alu instid0(VALU_DEP_3) | instskip(NEXT) | instid1(VALU_DEP_3)
	v_lshlrev_b64_e32 v[18:19], 3, v[22:23]
	v_add_co_u32 v22, s0, v10, v16
	s_wait_alu 0xf1ff
	s_delay_alu instid0(VALU_DEP_3)
	v_add_co_ci_u32_e64 v23, s0, v8, v17, s0
	v_mad_co_u64_u32 v[16:17], null, s19, v7, v[0:1]
	v_mad_co_u64_u32 v[24:25], null, s18, v15, 0
	;; [unrolled: 1-line block ×3, first 2 shown]
	v_dual_mov_b32 v21, v14 :: v_dual_add_nc_u32 v12, 0x157, v3
	v_add_nc_u32_e32 v14, 0x188, v3
	s_delay_alu instid0(VALU_DEP_4) | instskip(NEXT) | instid1(VALU_DEP_3)
	v_mov_b32_e32 v0, v25
	v_lshlrev_b64_e32 v[20:21], 3, v[20:21]
	s_delay_alu instid0(VALU_DEP_4) | instskip(SKIP_2) | instid1(VALU_DEP_4)
	v_mad_co_u64_u32 v[32:33], null, s18, v12, 0
	v_dual_mov_b32 v27, v16 :: v_dual_mov_b32 v4, v29
	v_mad_co_u64_u32 v[36:37], null, s18, v14, 0
	v_add_co_u32 v20, s0, v10, v20
	s_delay_alu instid0(VALU_DEP_3)
	v_lshlrev_b64_e32 v[16:17], 3, v[26:27]
	v_mad_co_u64_u32 v[25:26], null, s19, v15, v[0:1]
	v_mad_co_u64_u32 v[26:27], null, s19, v9, v[4:5]
	v_mov_b32_e32 v4, v33
	s_wait_alu 0xf1ff
	v_add_co_ci_u32_e64 v21, s0, v8, v21, s0
	v_add_co_u32 v18, s0, v10, v18
	s_wait_alu 0xf1ff
	v_add_co_ci_u32_e64 v19, s0, v8, v19, s0
	v_mov_b32_e32 v29, v26
	v_add_co_u32 v30, s0, v10, v16
	s_wait_alu 0xf1ff
	v_add_co_ci_u32_e64 v31, s0, v8, v17, s0
	v_add_nc_u32_e32 v17, 0x126, v3
	s_clause 0x3
	global_load_b64 v[22:23], v[22:23], off
	global_load_b64 v[20:21], v[20:21], off
	;; [unrolled: 1-line block ×4, first 2 shown]
	v_lshlrev_b64_e32 v[18:19], 3, v[24:25]
	v_lshlrev_b64_e32 v[24:25], 3, v[28:29]
	v_mad_co_u64_u32 v[26:27], null, s18, v17, 0
	s_delay_alu instid0(VALU_DEP_3) | instskip(SKIP_1) | instid1(VALU_DEP_4)
	v_add_co_u32 v18, s0, v10, v18
	s_wait_alu 0xf1ff
	v_add_co_ci_u32_e64 v19, s0, v8, v19, s0
	s_delay_alu instid0(VALU_DEP_4) | instskip(NEXT) | instid1(VALU_DEP_4)
	v_add_co_u32 v24, s0, v10, v24
	v_mov_b32_e32 v0, v27
	s_wait_alu 0xf1ff
	v_add_co_ci_u32_e64 v25, s0, v8, v25, s0
	s_delay_alu instid0(VALU_DEP_2) | instskip(SKIP_3) | instid1(VALU_DEP_4)
	v_mad_co_u64_u32 v[27:28], null, s19, v17, v[0:1]
	v_mov_b32_e32 v0, v37
	v_mad_co_u64_u32 v[28:29], null, s19, v12, v[4:5]
	v_add_nc_u32_e32 v4, 0x1b9, v3
	v_lshlrev_b64_e32 v[26:27], 3, v[26:27]
	s_delay_alu instid0(VALU_DEP_2) | instskip(NEXT) | instid1(VALU_DEP_4)
	v_mad_co_u64_u32 v[38:39], null, s18, v4, 0
	v_mov_b32_e32 v33, v28
	s_delay_alu instid0(VALU_DEP_3) | instskip(SKIP_1) | instid1(VALU_DEP_4)
	v_add_co_u32 v26, s0, v10, v26
	s_wait_alu 0xf1ff
	v_add_co_ci_u32_e64 v27, s0, v8, v27, s0
	s_delay_alu instid0(VALU_DEP_3)
	v_lshlrev_b64_e32 v[28:29], 3, v[32:33]
	v_mad_co_u64_u32 v[32:33], null, s19, v14, v[0:1]
	v_add_nc_u32_e32 v12, 0x1ea, v3
	v_mov_b32_e32 v0, v39
	v_add_nc_u32_e32 v14, 0x21b, v3
	v_add_co_u32 v28, s0, v10, v28
	s_wait_alu 0xf1ff
	v_add_co_ci_u32_e64 v29, s0, v8, v29, s0
	v_mov_b32_e32 v37, v32
	v_mad_co_u64_u32 v[32:33], null, s18, v12, 0
	v_mad_co_u64_u32 v[39:40], null, s19, v4, v[0:1]
	;; [unrolled: 1-line block ×3, first 2 shown]
	v_add_nc_u32_e32 v4, 0x24c, v3
	s_clause 0x3
	global_load_b64 v[42:43], v[18:19], off
	global_load_b64 v[24:25], v[24:25], off
	;; [unrolled: 1-line block ×4, first 2 shown]
	v_mov_b32_e32 v0, v33
	v_lshlrev_b64_e32 v[18:19], 3, v[36:37]
	v_mad_co_u64_u32 v[44:45], null, s18, v4, 0
	s_delay_alu instid0(VALU_DEP_3) | instskip(SKIP_4) | instid1(VALU_DEP_4)
	v_mad_co_u64_u32 v[36:37], null, s19, v12, v[0:1]
	v_mov_b32_e32 v0, v41
	v_add_nc_u32_e32 v12, 0x27d, v3
	v_lshlrev_b64_e32 v[37:38], 3, v[38:39]
	v_add_co_u32 v18, s0, v10, v18
	v_mad_co_u64_u32 v[46:47], null, s19, v14, v[0:1]
	s_delay_alu instid0(VALU_DEP_4)
	v_mad_co_u64_u32 v[47:48], null, s18, v12, 0
	v_mov_b32_e32 v0, v45
	s_wait_alu 0xf1ff
	v_add_co_ci_u32_e64 v19, s0, v8, v19, s0
	v_mov_b32_e32 v33, v36
	v_mov_b32_e32 v41, v46
	v_mad_co_u64_u32 v[45:46], null, s19, v4, v[0:1]
	v_mov_b32_e32 v0, v48
	v_add_co_u32 v36, s0, v10, v37
	s_wait_alu 0xf1ff
	v_add_co_ci_u32_e64 v37, s0, v8, v38, s0
	s_delay_alu instid0(VALU_DEP_3)
	v_mad_co_u64_u32 v[38:39], null, s19, v12, v[0:1]
	v_lshlrev_b64_e32 v[32:33], 3, v[32:33]
	v_lshlrev_b64_e32 v[39:40], 3, v[40:41]
	v_lshl_add_u32 v0, v3, 3, 0
	v_lshlrev_b64_e32 v[44:45], 3, v[44:45]
	v_mov_b32_e32 v4, 0
	v_add_co_u32 v32, s0, v10, v32
	s_delay_alu instid0(VALU_DEP_4)
	v_dual_mov_b32 v48, v38 :: v_dual_add_nc_u32 v49, 0x1000, v0
	s_wait_alu 0xf1ff
	v_add_co_ci_u32_e64 v33, s0, v8, v33, s0
	v_add_co_u32 v38, s0, v10, v39
	s_wait_alu 0xf1ff
	v_add_co_ci_u32_e64 v39, s0, v8, v40, s0
	v_lshlrev_b64_e32 v[40:41], 3, v[47:48]
	v_add_co_u32 v44, s0, v10, v44
	s_wait_alu 0xf1ff
	v_add_co_ci_u32_e64 v45, s0, v8, v45, s0
	v_mov_b32_e32 v12, v4
	s_delay_alu instid0(VALU_DEP_4)
	v_add_co_u32 v40, s0, v10, v40
	s_wait_alu 0xf1ff
	v_add_co_ci_u32_e64 v41, s0, v8, v41, s0
	s_clause 0x5
	global_load_b64 v[46:47], v[18:19], off
	global_load_b64 v[36:37], v[36:37], off
	;; [unrolled: 1-line block ×6, first 2 shown]
	v_dual_mov_b32 v14, v4 :: v_dual_add_nc_u32 v19, 0x800, v0
	v_mov_b32_e32 v8, v4
	v_mov_b32_e32 v16, v4
	;; [unrolled: 1-line block ×4, first 2 shown]
	v_add_nc_u32_e32 v48, 0xc00, v0
	s_wait_loadcnt 0xc
	ds_store_2addr_b64 v0, v[22:23], v[20:21] offset1:49
	s_wait_loadcnt 0xa
	ds_store_2addr_b64 v0, v[34:35], v[30:31] offset0:98 offset1:147
	s_wait_loadcnt 0x8
	ds_store_2addr_b64 v0, v[42:43], v[24:25] offset0:196 offset1:245
	;; [unrolled: 2-line block ×6, first 2 shown]
.LBB0_13:
	s_or_b32 exec_lo, exec_lo, s1
	v_lshl_add_u32 v0, v3, 3, 0
	s_load_b64 s[2:3], s[2:3], 0x0
	global_wb scope:SCOPE_SE
	s_wait_dscnt 0x0
	s_wait_kmcnt 0x0
	s_barrier_signal -1
	s_barrier_wait -1
	global_inv scope:SCOPE_SE
	ds_load_2addr_b64 v[22:25], v0 offset0:98 offset1:147
	v_add_nc_u32_e32 v19, 0x1000, v0
	v_mad_i32_i24 v67, v11, 56, 0
	ds_load_2addr_b64 v[26:29], v19 offset0:76 offset1:125
	v_add_nc_u32_e32 v21, 0xc00, v0
	s_wait_dscnt 0x0
	v_dual_add_f32 v51, v23, v27 :: v_dual_add_nc_u32 v20, 0x800, v0
	v_add_f32_e32 v50, v22, v26
	v_sub_f32_e32 v22, v22, v26
	ds_load_2addr_b64 v[30:33], v0 offset0:196 offset1:245
	ds_load_2addr_b64 v[34:37], v21 offset0:106 offset1:155
	;; [unrolled: 1-line block ×4, first 2 shown]
	ds_load_2addr_b64 v[46:49], v0 offset1:49
	v_sub_f32_e32 v23, v23, v27
	global_wb scope:SCOPE_SE
	s_wait_dscnt 0x0
	s_barrier_signal -1
	s_barrier_wait -1
	global_inv scope:SCOPE_SE
	v_dual_add_f32 v26, v30, v34 :: v_dual_add_f32 v27, v31, v35
	v_dual_sub_f32 v30, v30, v34 :: v_dual_sub_f32 v31, v31, v35
	v_dual_add_f32 v34, v38, v42 :: v_dual_add_f32 v35, v39, v43
	v_dual_sub_f32 v38, v42, v38 :: v_dual_sub_f32 v39, v43, v39
	s_delay_alu instid0(VALU_DEP_4) | instskip(SKIP_1) | instid1(VALU_DEP_4)
	v_dual_add_f32 v42, v26, v50 :: v_dual_add_f32 v43, v27, v51
	v_dual_sub_f32 v52, v26, v50 :: v_dual_sub_f32 v53, v27, v51
	v_dual_sub_f32 v50, v50, v34 :: v_dual_sub_f32 v51, v51, v35
	;; [unrolled: 1-line block ×3, first 2 shown]
	v_dual_add_f32 v54, v38, v30 :: v_dual_add_f32 v55, v39, v31
	v_sub_f32_e32 v56, v38, v30
	v_dual_add_f32 v34, v34, v42 :: v_dual_add_f32 v35, v35, v43
	v_dual_sub_f32 v57, v39, v31 :: v_dual_sub_f32 v38, v22, v38
	v_dual_sub_f32 v39, v23, v39 :: v_dual_sub_f32 v30, v30, v22
	v_dual_sub_f32 v31, v31, v23 :: v_dual_add_f32 v42, v54, v22
	s_delay_alu instid0(VALU_DEP_4) | instskip(SKIP_3) | instid1(VALU_DEP_3)
	v_dual_add_f32 v43, v55, v23 :: v_dual_add_f32 v22, v46, v34
	v_dual_add_f32 v23, v47, v35 :: v_dual_mul_f32 v46, 0x3f4a47b2, v50
	v_mul_f32_e32 v50, 0x3d64c772, v26
	v_dual_mul_f32 v54, 0xbf08b237, v56 :: v_dual_mul_f32 v55, 0xbf08b237, v57
	v_dual_fmamk_f32 v34, v34, 0xbf955555, v22 :: v_dual_fmamk_f32 v35, v35, 0xbf955555, v23
	s_delay_alu instid0(VALU_DEP_4) | instskip(SKIP_4) | instid1(VALU_DEP_4)
	v_fmamk_f32 v26, v26, 0x3d64c772, v46
	v_mul_f32_e32 v47, 0x3f4a47b2, v51
	v_mul_f32_e32 v51, 0x3d64c772, v27
	v_dual_mul_f32 v56, 0x3f5ff5aa, v30 :: v_dual_mul_f32 v57, 0x3f5ff5aa, v31
	v_fma_f32 v50, 0x3f3bfb3b, v52, -v50
	v_dual_add_f32 v58, v26, v34 :: v_dual_fmamk_f32 v27, v27, 0x3d64c772, v47
	s_delay_alu instid0(VALU_DEP_4)
	v_fma_f32 v51, 0x3f3bfb3b, v53, -v51
	v_fma_f32 v46, 0xbf3bfb3b, v52, -v46
	;; [unrolled: 1-line block ×3, first 2 shown]
	v_dual_fmamk_f32 v52, v38, 0x3eae86e6, v54 :: v_dual_fmamk_f32 v53, v39, 0x3eae86e6, v55
	v_fma_f32 v54, 0x3f5ff5aa, v30, -v54
	v_fma_f32 v55, 0x3f5ff5aa, v31, -v55
	;; [unrolled: 1-line block ×4, first 2 shown]
	v_dual_add_f32 v59, v27, v35 :: v_dual_add_f32 v38, v50, v34
	v_dual_add_f32 v39, v51, v35 :: v_dual_add_f32 v46, v46, v34
	;; [unrolled: 1-line block ×3, first 2 shown]
	v_dual_sub_f32 v24, v24, v28 :: v_dual_sub_f32 v25, v25, v29
	v_dual_add_f32 v28, v32, v36 :: v_dual_add_f32 v29, v33, v37
	v_dual_add_f32 v47, v47, v35 :: v_dual_fmac_f32 v52, 0x3ee1c552, v42
	v_dual_fmac_f32 v53, 0x3ee1c552, v43 :: v_dual_fmac_f32 v54, 0x3ee1c552, v42
	v_dual_fmac_f32 v57, 0x3ee1c552, v43 :: v_dual_fmac_f32 v56, 0x3ee1c552, v42
	s_delay_alu instid0(VALU_DEP_2)
	v_dual_fmac_f32 v55, 0x3ee1c552, v43 :: v_dual_add_f32 v26, v58, v53
	v_dual_sub_f32 v32, v32, v36 :: v_dual_sub_f32 v33, v33, v37
	v_dual_add_f32 v36, v40, v44 :: v_dual_add_f32 v37, v41, v45
	v_dual_sub_f32 v40, v44, v40 :: v_dual_sub_f32 v41, v45, v41
	v_dual_add_f32 v44, v28, v50 :: v_dual_add_f32 v45, v29, v51
	v_dual_sub_f32 v27, v59, v52 :: v_dual_add_f32 v30, v57, v46
	v_dual_sub_f32 v31, v47, v56 :: v_dual_sub_f32 v34, v38, v55
	v_dual_add_f32 v35, v54, v39 :: v_dual_add_f32 v38, v55, v38
	v_dual_sub_f32 v39, v39, v54 :: v_dual_sub_f32 v42, v46, v57
	v_dual_add_f32 v43, v56, v47 :: v_dual_sub_f32 v46, v58, v53
	v_add_f32_e32 v47, v52, v59
	v_dual_sub_f32 v52, v28, v50 :: v_dual_sub_f32 v53, v29, v51
	v_dual_sub_f32 v50, v50, v36 :: v_dual_sub_f32 v51, v51, v37
	;; [unrolled: 1-line block ×3, first 2 shown]
	v_dual_add_f32 v54, v40, v32 :: v_dual_add_f32 v55, v41, v33
	v_sub_f32_e32 v56, v40, v32
	v_dual_add_f32 v36, v36, v44 :: v_dual_add_f32 v37, v37, v45
	v_dual_sub_f32 v57, v41, v33 :: v_dual_sub_f32 v40, v24, v40
	v_dual_sub_f32 v41, v25, v41 :: v_dual_sub_f32 v32, v32, v24
	v_dual_sub_f32 v33, v33, v25 :: v_dual_add_f32 v44, v54, v24
	s_delay_alu instid0(VALU_DEP_4) | instskip(SKIP_3) | instid1(VALU_DEP_3)
	v_dual_add_f32 v45, v55, v25 :: v_dual_add_f32 v24, v48, v36
	v_dual_add_f32 v25, v49, v37 :: v_dual_mul_f32 v48, 0x3f4a47b2, v50
	v_mul_f32_e32 v50, 0x3d64c772, v28
	v_dual_mul_f32 v54, 0xbf08b237, v56 :: v_dual_mul_f32 v55, 0xbf08b237, v57
	v_dual_fmamk_f32 v36, v36, 0xbf955555, v24 :: v_dual_fmamk_f32 v37, v37, 0xbf955555, v25
	s_delay_alu instid0(VALU_DEP_4)
	v_fmamk_f32 v28, v28, 0x3d64c772, v48
	v_mul_f32_e32 v49, 0x3f4a47b2, v51
	v_mul_f32_e32 v51, 0x3d64c772, v29
	v_dual_mul_f32 v56, 0x3f5ff5aa, v32 :: v_dual_mul_f32 v57, 0x3f5ff5aa, v33
	v_fma_f32 v50, 0x3f3bfb3b, v52, -v50
	v_fma_f32 v48, 0xbf3bfb3b, v52, -v48
	v_fmamk_f32 v52, v40, 0x3eae86e6, v54
	v_fma_f32 v54, 0x3f5ff5aa, v32, -v54
	v_dual_add_f32 v58, v28, v36 :: v_dual_fmamk_f32 v29, v29, 0x3d64c772, v49
	v_and_b32_e32 v32, 0xff, v3
	v_fma_f32 v51, 0x3f3bfb3b, v53, -v51
	v_fma_f32 v49, 0xbf3bfb3b, v53, -v49
	v_fmamk_f32 v53, v41, 0x3eae86e6, v55
	v_add_f32_e32 v59, v29, v37
	v_mul_lo_u16 v28, v32, 37
	v_fma_f32 v56, 0xbeae86e6, v40, -v56
	v_add_f32_e32 v40, v50, v36
	v_dual_fmac_f32 v52, 0x3ee1c552, v44 :: v_dual_fmac_f32 v53, 0x3ee1c552, v45
	s_delay_alu instid0(VALU_DEP_4) | instskip(SKIP_2) | instid1(VALU_DEP_4)
	v_lshrrev_b16 v50, 8, v28
	v_and_b32_e32 v28, 0xff, v11
	v_fma_f32 v55, 0x3f5ff5aa, v33, -v55
	v_sub_f32_e32 v29, v59, v52
	v_fma_f32 v57, 0xbeae86e6, v41, -v57
	v_sub_nc_u16 v32, v3, v50
	v_mul_lo_u16 v33, v28, 37
	v_dual_add_f32 v41, v51, v37 :: v_dual_add_f32 v48, v48, v36
	v_add_f32_e32 v49, v49, v37
	s_delay_alu instid0(VALU_DEP_4) | instskip(NEXT) | instid1(VALU_DEP_4)
	v_lshrrev_b16 v37, 1, v32
	v_lshrrev_b16 v51, 8, v33
	v_dual_fmac_f32 v54, 0x3ee1c552, v44 :: v_dual_fmac_f32 v55, 0x3ee1c552, v45
	v_dual_fmac_f32 v56, 0x3ee1c552, v44 :: v_dual_fmac_f32 v57, 0x3ee1c552, v45
	s_delay_alu instid0(VALU_DEP_4) | instskip(NEXT) | instid1(VALU_DEP_4)
	v_and_b32_e32 v44, 0x7f, v37
	v_sub_nc_u16 v45, v11, v51
	s_delay_alu instid0(VALU_DEP_3) | instskip(NEXT) | instid1(VALU_DEP_4)
	v_dual_add_f32 v28, v58, v53 :: v_dual_sub_f32 v33, v49, v56
	v_dual_add_f32 v32, v57, v48 :: v_dual_add_f32 v37, v54, v41
	v_dual_sub_f32 v36, v40, v55 :: v_dual_sub_f32 v41, v41, v54
	v_add_f32_e32 v40, v55, v40
	v_lshrrev_b16 v54, 1, v45
	v_add_f32_e32 v45, v56, v49
	v_add_f32_e32 v49, v52, v59
	v_add_nc_u16 v50, v44, v50
	s_delay_alu instid0(VALU_DEP_1) | instskip(SKIP_1) | instid1(VALU_DEP_2)
	v_lshrrev_b16 v79, 2, v50
	v_and_b32_e32 v50, 0x7f, v54
	v_mul_lo_u16 v52, v79, 7
	s_delay_alu instid0(VALU_DEP_2)
	v_add_nc_u16 v50, v50, v51
	v_mad_u32_u24 v51, v3, 48, v0
	ds_store_2addr_b64 v51, v[22:23], v[26:27] offset1:1
	ds_store_2addr_b64 v51, v[30:31], v[34:35] offset0:2 offset1:3
	v_sub_nc_u16 v52, v3, v52
	v_sub_f32_e32 v44, v48, v57
	v_lshrrev_b16 v80, 2, v50
	ds_store_2addr_b64 v51, v[38:39], v[42:43] offset0:4 offset1:5
	ds_store_b64 v51, v[46:47] offset:48
	ds_store_2addr_b64 v67, v[24:25], v[28:29] offset1:1
	ds_store_2addr_b64 v67, v[32:33], v[36:37] offset0:2 offset1:3
	v_lshl_add_u32 v24, v13, 3, 0
	v_and_b32_e32 v81, 0xff, v52
	v_mad_i32_i24 v25, 0xffffffd0, v11, v67
	v_mul_lo_u16 v22, v80, 7
	v_lshlrev_b64_e32 v[13:14], 3, v[13:14]
	s_delay_alu instid0(VALU_DEP_4) | instskip(SKIP_1) | instid1(VALU_DEP_4)
	v_mul_u32_u24_e32 v23, 6, v81
	v_sub_f32_e32 v48, v58, v53
	v_sub_nc_u16 v22, v11, v22
	v_lshlrev_b64_e32 v[11:12], 3, v[11:12]
	s_delay_alu instid0(VALU_DEP_4)
	v_lshlrev_b32_e32 v23, 3, v23
	ds_store_2addr_b64 v67, v[40:41], v[44:45] offset0:4 offset1:5
	ds_store_b64 v67, v[48:49] offset:48
	global_wb scope:SCOPE_SE
	s_wait_dscnt 0x0
	s_barrier_signal -1
	s_barrier_wait -1
	global_inv scope:SCOPE_SE
	s_clause 0x1
	global_load_b128 v[27:30], v23, s[8:9]
	global_load_b128 v[31:34], v23, s[8:9] offset:16
	v_and_b32_e32 v82, 0xff, v22
	s_delay_alu instid0(VALU_DEP_1) | instskip(NEXT) | instid1(VALU_DEP_1)
	v_mul_u32_u24_e32 v22, 6, v82
	v_lshlrev_b32_e32 v22, 3, v22
	s_clause 0x3
	global_load_b128 v[35:38], v23, s[8:9] offset:32
	global_load_b128 v[39:42], v22, s[8:9]
	global_load_b128 v[43:46], v22, s[8:9] offset:16
	global_load_b128 v[47:50], v22, s[8:9] offset:32
	v_lshl_add_u32 v23, v15, 3, 0
	v_lshl_add_u32 v22, v17, 3, 0
	v_add_nc_u32_e32 v26, 0x400, v0
	ds_load_b64 v[71:72], v24
	ds_load_b64 v[73:74], v23
	;; [unrolled: 1-line block ×3, first 2 shown]
	ds_load_2addr_b64 v[51:54], v20 offset0:136 offset1:185
	ds_load_2addr_b64 v[55:58], v21 offset0:106 offset1:155
	ds_load_2addr_b64 v[59:62], v19 offset0:76 offset1:125
	ds_load_2addr_b64 v[63:66], v0 offset1:147
	ds_load_2addr_b64 v[67:70], v26 offset0:117 offset1:215
	ds_load_b64 v[77:78], v25
	global_wb scope:SCOPE_SE
	s_wait_loadcnt_dscnt 0x0
	s_barrier_signal -1
	s_barrier_wait -1
	global_inv scope:SCOPE_SE
	v_lshlrev_b64_e32 v[15:16], 3, v[15:16]
	v_mul_f32_e32 v83, v28, v72
	v_mul_f32_e32 v28, v28, v71
	;; [unrolled: 1-line block ×3, first 2 shown]
	v_dual_mul_f32 v30, v30, v73 :: v_dual_mul_f32 v85, v32, v76
	v_mul_f32_e32 v32, v32, v75
	v_mul_f32_e32 v86, v34, v52
	v_fma_f32 v71, v27, v71, -v83
	s_delay_alu instid0(VALU_DEP_4)
	v_fma_f32 v75, v31, v75, -v85
	v_mul_f32_e32 v87, v56, v36
	v_mul_f32_e32 v89, v66, v40
	v_fmac_f32_e32 v28, v27, v72
	v_mul_f32_e32 v27, v65, v40
	v_fma_f32 v72, v29, v73, -v84
	v_dual_mul_f32 v73, v54, v46 :: v_dual_fmac_f32 v32, v31, v76
	v_mul_f32_e32 v31, v57, v48
	v_fmac_f32_e32 v30, v29, v74
	v_dual_mul_f32 v29, v67, v42 :: v_dual_mul_f32 v34, v34, v51
	v_fma_f32 v51, v33, v51, -v86
	v_dual_mul_f32 v36, v55, v36 :: v_dual_fmac_f32 v27, v66, v39
	s_delay_alu instid0(VALU_DEP_3) | instskip(SKIP_4) | instid1(VALU_DEP_4)
	v_dual_fmac_f32 v29, v68, v41 :: v_dual_fmac_f32 v34, v33, v52
	v_mul_f32_e32 v33, v61, v50
	v_dual_mul_f32 v88, v60, v38 :: v_dual_fmac_f32 v31, v58, v47
	v_mul_f32_e32 v38, v59, v38
	v_mul_f32_e32 v74, v58, v48
	v_dual_fmac_f32 v33, v62, v49 :: v_dual_mul_f32 v46, v53, v46
	v_mul_f32_e32 v48, v62, v50
	v_fma_f32 v50, v55, v35, -v87
	v_fmac_f32_e32 v36, v56, v35
	v_fma_f32 v35, v59, v37, -v88
	v_mul_f32_e32 v40, v68, v42
	v_add_f32_e32 v52, v27, v33
	v_sub_f32_e32 v27, v27, v33
	v_fmac_f32_e32 v46, v54, v45
	v_fmac_f32_e32 v38, v60, v37
	v_mul_f32_e32 v42, v70, v44
	v_mul_f32_e32 v44, v69, v44
	v_fma_f32 v37, v65, v39, -v89
	v_fma_f32 v39, v67, v41, -v40
	;; [unrolled: 1-line block ×4, first 2 shown]
	v_fmac_f32_e32 v44, v70, v43
	v_fma_f32 v42, v57, v47, -v74
	v_fma_f32 v43, v61, v49, -v48
	v_add_f32_e32 v45, v71, v35
	v_sub_f32_e32 v35, v71, v35
	v_sub_f32_e32 v49, v72, v50
	v_add_f32_e32 v47, v28, v38
	v_sub_f32_e32 v28, v28, v38
	v_add_f32_e32 v33, v39, v42
	v_dual_sub_f32 v39, v39, v42 :: v_dual_add_f32 v48, v30, v36
	v_sub_f32_e32 v30, v30, v36
	v_add_f32_e32 v36, v75, v51
	v_dual_sub_f32 v51, v51, v75 :: v_dual_add_f32 v38, v72, v50
	v_add_f32_e32 v50, v32, v34
	v_sub_f32_e32 v32, v34, v32
	v_add_f32_e32 v34, v37, v43
	v_sub_f32_e32 v37, v37, v43
	;; [unrolled: 2-line block ×3, first 2 shown]
	v_dual_add_f32 v31, v40, v41 :: v_dual_sub_f32 v40, v41, v40
	v_dual_sub_f32 v41, v46, v44 :: v_dual_add_f32 v42, v44, v46
	v_dual_add_f32 v46, v48, v47 :: v_dual_add_f32 v55, v51, v49
	v_sub_f32_e32 v53, v38, v45
	v_sub_f32_e32 v57, v51, v49
	;; [unrolled: 1-line block ×4, first 2 shown]
	v_add_f32_e32 v59, v33, v34
	v_dual_sub_f32 v61, v33, v34 :: v_dual_add_f32 v60, v43, v52
	v_sub_f32_e32 v62, v43, v52
	v_add_f32_e32 v66, v41, v29
	v_sub_f32_e32 v68, v41, v29
	v_sub_f32_e32 v41, v27, v41
	;; [unrolled: 1-line block ×3, first 2 shown]
	v_dual_add_f32 v44, v38, v45 :: v_dual_add_f32 v65, v40, v39
	v_dual_sub_f32 v45, v45, v36 :: v_dual_sub_f32 v54, v48, v47
	v_sub_f32_e32 v47, v47, v50
	v_dual_sub_f32 v38, v36, v38 :: v_dual_sub_f32 v69, v29, v27
	v_dual_sub_f32 v48, v50, v48 :: v_dual_sub_f32 v67, v40, v39
	v_dual_add_f32 v56, v32, v30 :: v_dual_add_f32 v35, v55, v35
	v_sub_f32_e32 v58, v32, v30
	v_sub_f32_e32 v32, v28, v32
	v_dual_sub_f32 v30, v30, v28 :: v_dual_mul_f32 v55, 0xbf08b237, v57
	v_dual_sub_f32 v52, v52, v42 :: v_dual_sub_f32 v33, v31, v33
	v_dual_sub_f32 v34, v34, v31 :: v_dual_mul_f32 v29, 0x3f4a47b2, v45
	v_mul_f32_e32 v45, 0x3f4a47b2, v47
	v_mul_f32_e32 v47, 0x3d64c772, v38
	v_dual_add_f32 v31, v31, v59 :: v_dual_add_f32 v36, v36, v44
	v_sub_f32_e32 v39, v39, v37
	v_dual_mul_f32 v57, 0x3f5ff5aa, v49 :: v_dual_add_f32 v42, v42, v60
	v_add_f32_e32 v59, v65, v37
	v_mul_f32_e32 v65, 0x3d64c772, v43
	v_add_f32_e32 v60, v66, v27
	v_fmamk_f32 v38, v38, 0x3d64c772, v29
	v_fma_f32 v47, 0x3f3bfb3b, v53, -v47
	v_fma_f32 v53, 0xbf3bfb3b, v53, -v29
	v_add_f32_e32 v29, v31, v77
	v_dual_add_f32 v27, v36, v63 :: v_dual_add_f32 v44, v50, v46
	v_add_f32_e32 v46, v56, v28
	v_mul_f32_e32 v50, 0x3d64c772, v48
	v_mul_f32_e32 v56, 0xbf08b237, v58
	v_sub_f32_e32 v40, v37, v40
	v_mul_f32_e32 v58, 0x3f5ff5aa, v30
	v_dual_mul_f32 v37, 0x3f4a47b2, v52 :: v_dual_mul_f32 v34, 0x3f4a47b2, v34
	v_fmamk_f32 v48, v48, 0x3d64c772, v45
	v_fma_f32 v50, 0x3f3bfb3b, v54, -v50
	v_fma_f32 v45, 0xbf3bfb3b, v54, -v45
	v_dual_fmamk_f32 v54, v51, 0x3eae86e6, v55 :: v_dual_fmamk_f32 v63, v32, 0x3eae86e6, v56
	v_fma_f32 v49, 0x3f5ff5aa, v49, -v55
	v_fma_f32 v55, 0x3f5ff5aa, v30, -v56
	;; [unrolled: 1-line block ×4, first 2 shown]
	v_fmamk_f32 v32, v33, 0x3d64c772, v34
	v_fma_f32 v57, 0xbf3bfb3b, v61, -v34
	v_fmamk_f32 v34, v36, 0xbf955555, v27
	v_mul_f32_e32 v52, 0x3d64c772, v33
	v_dual_mul_f32 v66, 0xbf08b237, v67 :: v_dual_mul_f32 v67, 0xbf08b237, v68
	v_fmamk_f32 v33, v43, 0x3d64c772, v37
	v_fma_f32 v58, 0xbf3bfb3b, v62, -v37
	v_dual_fmac_f32 v54, 0x3ee1c552, v35 :: v_dual_fmac_f32 v55, 0x3ee1c552, v46
	v_dual_add_f32 v37, v47, v34 :: v_dual_mul_f32 v70, 0x3f5ff5aa, v69
	v_mul_f32_e32 v68, 0x3f5ff5aa, v39
	v_dual_add_f32 v28, v44, v64 :: v_dual_fmac_f32 v49, 0x3ee1c552, v35
	v_fma_f32 v43, 0x3f3bfb3b, v61, -v52
	v_fma_f32 v52, 0x3f3bfb3b, v62, -v65
	v_fmamk_f32 v62, v41, 0x3eae86e6, v67
	v_fma_f32 v64, 0x3f5ff5aa, v39, -v66
	v_fma_f32 v65, 0x3f5ff5aa, v69, -v67
	v_fmac_f32_e32 v51, 0x3ee1c552, v35
	v_add_f32_e32 v39, v53, v34
	v_dual_fmamk_f32 v61, v40, 0x3eae86e6, v66 :: v_dual_add_f32 v30, v42, v78
	v_sub_f32_e32 v35, v37, v55
	v_fma_f32 v67, 0xbeae86e6, v41, -v70
	v_fmac_f32_e32 v63, 0x3ee1c552, v46
	s_delay_alu instid0(VALU_DEP_4) | instskip(NEXT) | instid1(VALU_DEP_3)
	v_dual_fmac_f32 v56, 0x3ee1c552, v46 :: v_dual_fmac_f32 v61, 0x3ee1c552, v59
	v_dual_fmac_f32 v64, 0x3ee1c552, v59 :: v_dual_fmac_f32 v67, 0x3ee1c552, v60
	v_dual_fmamk_f32 v46, v42, 0xbf955555, v30 :: v_dual_add_f32 v37, v55, v37
	v_fma_f32 v66, 0xbeae86e6, v40, -v68
	v_fmac_f32_e32 v65, 0x3ee1c552, v60
	v_fmamk_f32 v36, v44, 0xbf955555, v28
	s_delay_alu instid0(VALU_DEP_4)
	v_add_f32_e32 v68, v33, v46
	v_dual_fmamk_f32 v44, v31, 0xbf955555, v29 :: v_dual_add_f32 v33, v56, v39
	v_sub_f32_e32 v39, v39, v56
	v_add_f32_e32 v41, v38, v34
	v_add_f32_e32 v38, v50, v36
	;; [unrolled: 1-line block ×3, first 2 shown]
	v_lshlrev_b32_e32 v56, 3, v81
	s_delay_alu instid0(VALU_DEP_4) | instskip(SKIP_4) | instid1(VALU_DEP_2)
	v_dual_fmac_f32 v66, 0x3ee1c552, v59 :: v_dual_add_f32 v31, v63, v41
	v_dual_sub_f32 v41, v41, v63 :: v_dual_add_f32 v42, v48, v36
	v_add_f32_e32 v36, v49, v38
	v_dual_sub_f32 v38, v38, v49 :: v_dual_add_f32 v49, v43, v44
	v_sub_f32_e32 v34, v40, v51
	v_dual_add_f32 v40, v51, v40 :: v_dual_sub_f32 v47, v49, v65
	v_add_f32_e32 v49, v65, v49
	v_add_f32_e32 v51, v57, v44
	;; [unrolled: 1-line block ×3, first 2 shown]
	v_dual_sub_f32 v44, v68, v61 :: v_dual_and_b32 v57, 0xffff, v80
	s_delay_alu instid0(VALU_DEP_3) | instskip(SKIP_2) | instid1(VALU_DEP_3)
	v_dual_add_f32 v45, v67, v51 :: v_dual_fmac_f32 v62, 0x3ee1c552, v60
	v_dual_sub_f32 v51, v51, v67 :: v_dual_add_f32 v50, v52, v46
	v_add_f32_e32 v52, v58, v46
	v_add_f32_e32 v43, v62, v53
	v_sub_f32_e32 v53, v53, v62
	v_sub_f32_e32 v32, v42, v54
	v_add_f32_e32 v42, v54, v42
	v_and_b32_e32 v54, 0xffff, v79
	v_sub_f32_e32 v46, v52, v66
	v_add_f32_e32 v48, v64, v50
	v_sub_f32_e32 v50, v50, v64
	v_add_f32_e32 v52, v66, v52
	v_mul_u32_u24_e32 v55, 0x188, v54
	v_add_f32_e32 v54, v61, v68
	s_delay_alu instid0(VALU_DEP_2)
	v_add3_u32 v55, 0, v55, v56
	v_mul_u32_u24_e32 v56, 0x188, v57
	v_lshlrev_b32_e32 v57, 3, v82
	ds_store_2addr_b64 v55, v[27:28], v[31:32] offset1:7
	v_mul_u32_u24_e32 v28, 6, v3
	v_add3_u32 v27, 0, v56, v57
	ds_store_2addr_b64 v55, v[33:34], v[35:36] offset0:14 offset1:21
	ds_store_2addr_b64 v55, v[37:38], v[39:40] offset0:28 offset1:35
	ds_store_b64 v55, v[41:42] offset:336
	ds_store_2addr_b64 v27, v[29:30], v[43:44] offset1:7
	ds_store_2addr_b64 v27, v[45:46], v[47:48] offset0:14 offset1:21
	ds_store_2addr_b64 v27, v[49:50], v[51:52] offset0:28 offset1:35
	ds_store_b64 v27, v[53:54] offset:336
	v_lshlrev_b32_e32 v35, 3, v28
	global_wb scope:SCOPE_SE
	s_wait_dscnt 0x0
	s_barrier_signal -1
	s_barrier_wait -1
	global_inv scope:SCOPE_SE
	s_clause 0x2
	global_load_b128 v[27:30], v35, s[8:9] offset:336
	global_load_b128 v[31:34], v35, s[8:9] offset:352
	global_load_b128 v[35:38], v35, s[8:9] offset:368
	v_lshlrev_b64_e32 v[39:40], 3, v[3:4]
	v_lshlrev_b64_e32 v[41:42], 3, v[7:8]
	;; [unrolled: 1-line block ×4, first 2 shown]
	ds_load_b64 v[61:62], v24
	ds_load_b64 v[63:64], v23
	;; [unrolled: 1-line block ×3, first 2 shown]
	v_add_co_u32 v53, s0, s8, v39
	s_wait_alu 0xf1ff
	v_add_co_ci_u32_e64 v54, s0, s9, v40, s0
	v_add_co_u32 v55, s0, s8, v11
	s_wait_alu 0xf1ff
	v_add_co_ci_u32_e64 v56, s0, s9, v12, s0
	;; [unrolled: 3-line block ×5, first 2 shown]
	ds_load_2addr_b64 v[10:13], v20 offset0:136 offset1:185
	ds_load_2addr_b64 v[14:17], v0 offset1:147
	ds_load_2addr_b64 v[39:42], v21 offset0:106 offset1:155
	ds_load_2addr_b64 v[43:46], v19 offset0:76 offset1:125
	v_add_co_u32 v69, s0, s8, v47
	s_wait_alu 0xf1ff
	v_add_co_ci_u32_e64 v70, s0, s9, v48, s0
	ds_load_2addr_b64 v[47:50], v26 offset0:117 offset1:215
	ds_load_b64 v[71:72], v25
	global_wb scope:SCOPE_SE
	s_wait_loadcnt_dscnt 0x0
	s_barrier_signal -1
	s_barrier_wait -1
	global_inv scope:SCOPE_SE
	v_mul_f32_e32 v18, v30, v64
	v_dual_mul_f32 v76, v34, v10 :: v_dual_mul_f32 v77, v36, v40
	v_mul_f32_e32 v73, v32, v66
	v_dual_mul_f32 v74, v32, v65 :: v_dual_mul_f32 v75, v34, v11
	v_dual_mul_f32 v78, v36, v39 :: v_dual_mul_f32 v83, v50, v32
	v_mul_f32_e32 v32, v49, v32
	v_mul_f32_e32 v84, v13, v34
	v_dual_mul_f32 v34, v12, v34 :: v_dual_mul_f32 v85, v42, v36
	v_mul_f32_e32 v36, v41, v36
	v_fma_f32 v18, v29, v63, -v18
	v_fmac_f32_e32 v76, v33, v11
	v_fma_f32 v11, v35, v39, -v77
	v_dual_mul_f32 v26, v30, v63 :: v_dual_mul_f32 v81, v17, v28
	v_mul_f32_e32 v86, v46, v38
	v_fmac_f32_e32 v78, v35, v40
	v_fmac_f32_e32 v32, v50, v31
	;; [unrolled: 1-line block ×3, first 2 shown]
	v_mul_f32_e32 v8, v28, v61
	v_fma_f32 v13, v41, v35, -v85
	v_mul_f32_e32 v4, v28, v62
	v_fmac_f32_e32 v36, v42, v35
	v_add_f32_e32 v35, v18, v11
	v_dual_sub_f32 v11, v18, v11 :: v_dual_mul_f32 v28, v16, v28
	v_mul_f32_e32 v82, v48, v30
	v_mul_f32_e32 v30, v47, v30
	;; [unrolled: 1-line block ×5, first 2 shown]
	v_fmac_f32_e32 v26, v29, v64
	v_fma_f32 v16, v16, v27, -v81
	v_fmac_f32_e32 v28, v17, v27
	v_fma_f32 v17, v47, v29, -v82
	;; [unrolled: 2-line block ×4, first 2 shown]
	v_fma_f32 v12, v12, v33, -v84
	v_fmac_f32_e32 v38, v46, v37
	v_add_f32_e32 v41, v16, v29
	v_sub_f32_e32 v16, v16, v29
	v_add_f32_e32 v29, v17, v13
	v_sub_f32_e32 v13, v17, v13
	v_fma_f32 v4, v27, v61, -v4
	v_fma_f32 v27, v49, v31, -v83
	;; [unrolled: 1-line block ×3, first 2 shown]
	v_fmac_f32_e32 v74, v31, v66
	v_fma_f32 v10, v33, v10, -v75
	v_add_f32_e32 v31, v4, v39
	v_sub_f32_e32 v4, v4, v39
	v_add_f32_e32 v42, v28, v38
	v_sub_f32_e32 v28, v28, v38
	;; [unrolled: 2-line block ×4, first 2 shown]
	v_sub_f32_e32 v18, v26, v78
	v_dual_add_f32 v36, v32, v34 :: v_dual_sub_f32 v27, v34, v32
	v_add_f32_e32 v32, v35, v31
	v_sub_f32_e32 v50, v11, v4
	v_dual_fmac_f32 v80, v44, v37 :: v_dual_add_f32 v37, v26, v78
	v_dual_add_f32 v26, v61, v10 :: v_dual_add_f32 v63, v12, v13
	v_sub_f32_e32 v65, v12, v13
	v_add_f32_e32 v39, v74, v76
	v_sub_f32_e32 v43, v35, v31
	s_delay_alu instid0(VALU_DEP_4)
	v_sub_f32_e32 v31, v31, v26
	v_sub_f32_e32 v35, v26, v35
	;; [unrolled: 1-line block ×3, first 2 shown]
	v_add_f32_e32 v26, v26, v32
	v_sub_f32_e32 v40, v76, v74
	v_sub_f32_e32 v74, v13, v16
	v_dual_add_f32 v16, v63, v16 :: v_dual_mul_f32 v63, 0xbf08b237, v65
	v_sub_f32_e32 v10, v10, v61
	v_mul_f32_e32 v12, 0x3f4a47b2, v31
	v_mul_f32_e32 v31, 0x3d64c772, v35
	v_sub_f32_e32 v61, v29, v41
	s_delay_alu instid0(VALU_DEP_4) | instskip(SKIP_3) | instid1(VALU_DEP_4)
	v_dual_add_f32 v64, v27, v17 :: v_dual_add_f32 v45, v10, v11
	v_sub_f32_e32 v49, v4, v10
	v_dual_sub_f32 v47, v10, v11 :: v_dual_add_f32 v10, v29, v41
	v_sub_f32_e32 v41, v41, v30
	v_dual_add_f32 v4, v45, v4 :: v_dual_mul_f32 v45, 0x3f5ff5aa, v50
	v_add_f32_e32 v33, v8, v80
	v_sub_f32_e32 v29, v30, v29
	v_add_f32_e32 v30, v30, v10
	v_add_f32_e32 v10, v26, v14
	v_fmamk_f32 v14, v35, 0x3d64c772, v12
	v_add_f32_e32 v34, v37, v33
	v_fma_f32 v31, 0x3f3bfb3b, v43, -v31
	v_fma_f32 v35, 0xbf3bfb3b, v43, -v12
	v_dual_add_f32 v11, v38, v42 :: v_dual_sub_f32 v66, v27, v17
	s_delay_alu instid0(VALU_DEP_4)
	v_add_f32_e32 v32, v39, v34
	v_mul_f32_e32 v34, 0xbf08b237, v47
	v_sub_f32_e32 v62, v38, v42
	v_sub_f32_e32 v42, v42, v36
	;; [unrolled: 1-line block ×4, first 2 shown]
	v_fmamk_f32 v43, v49, 0x3eae86e6, v34
	v_fma_f32 v34, 0x3f5ff5aa, v50, -v34
	v_dual_sub_f32 v17, v17, v28 :: v_dual_add_f32 v36, v36, v11
	v_add_f32_e32 v28, v64, v28
	v_mul_f32_e32 v64, 0xbf08b237, v66
	s_delay_alu instid0(VALU_DEP_4)
	v_fmac_f32_e32 v34, 0x3ee1c552, v4
	v_sub_f32_e32 v44, v37, v33
	v_sub_f32_e32 v33, v33, v39
	;; [unrolled: 1-line block ×3, first 2 shown]
	v_mul_f32_e32 v41, 0x3f4a47b2, v41
	v_dual_mul_f32 v66, 0x3f5ff5aa, v17 :: v_dual_add_f32 v11, v32, v15
	s_delay_alu instid0(VALU_DEP_4) | instskip(NEXT) | instid1(VALU_DEP_4)
	v_dual_mul_f32 v13, 0x3f4a47b2, v33 :: v_dual_sub_f32 v8, v8, v80
	v_mul_f32_e32 v33, 0x3d64c772, v37
	v_fma_f32 v50, 0x3f5ff5aa, v17, -v64
	v_fmamk_f32 v17, v26, 0xbf955555, v10
	s_delay_alu instid0(VALU_DEP_4)
	v_fmamk_f32 v15, v37, 0x3d64c772, v13
	v_fma_f32 v37, 0xbf3bfb3b, v44, -v13
	v_add_f32_e32 v13, v36, v72
	v_sub_f32_e32 v48, v40, v18
	v_dual_add_f32 v46, v40, v18 :: v_dual_mul_f32 v47, 0x3d64c772, v29
	v_dual_fmamk_f32 v29, v29, 0x3d64c772, v41 :: v_dual_sub_f32 v40, v8, v40
	v_sub_f32_e32 v18, v18, v8
	s_delay_alu instid0(VALU_DEP_4) | instskip(NEXT) | instid1(VALU_DEP_4)
	v_mul_f32_e32 v39, 0xbf08b237, v48
	v_add_f32_e32 v8, v46, v8
	v_fma_f32 v33, 0x3f3bfb3b, v44, -v33
	v_add_f32_e32 v12, v30, v71
	v_mul_f32_e32 v46, 0x3f5ff5aa, v18
	v_fmamk_f32 v44, v40, 0x3eae86e6, v39
	v_fma_f32 v18, 0x3f5ff5aa, v18, -v39
	v_fma_f32 v39, 0xbeae86e6, v49, -v45
	v_fmamk_f32 v26, v32, 0xbf955555, v11
	v_fmac_f32_e32 v43, 0x3ee1c552, v4
	v_mul_f32_e32 v48, 0x3d64c772, v38
	v_fma_f32 v45, 0x3f3bfb3b, v61, -v47
	v_fmac_f32_e32 v39, 0x3ee1c552, v4
	v_fmamk_f32 v4, v30, 0xbf955555, v12
	v_add_f32_e32 v30, v33, v26
	v_fmamk_f32 v47, v73, 0x3eae86e6, v63
	v_fma_f32 v49, 0x3f5ff5aa, v74, -v63
	v_fmac_f32_e32 v44, 0x3ee1c552, v8
	v_add_f32_e32 v63, v29, v4
	v_sub_f32_e32 v29, v30, v34
	v_fma_f32 v40, 0xbeae86e6, v40, -v46
	v_fma_f32 v46, 0x3f3bfb3b, v62, -v48
	v_fmac_f32_e32 v18, 0x3ee1c552, v8
	v_mul_f32_e32 v42, 0x3f4a47b2, v42
	v_fma_f32 v41, 0xbf3bfb3b, v61, -v41
	v_fmac_f32_e32 v40, 0x3ee1c552, v8
	v_fmamk_f32 v8, v36, 0xbf955555, v13
	v_fmac_f32_e32 v49, 0x3ee1c552, v16
	v_mul_f32_e32 v65, 0x3f5ff5aa, v74
	v_dual_fmamk_f32 v48, v27, 0x3eae86e6, v64 :: v_dual_add_f32 v45, v45, v4
	s_delay_alu instid0(VALU_DEP_4) | instskip(SKIP_1) | instid1(VALU_DEP_4)
	v_add_f32_e32 v46, v46, v8
	v_add_f32_e32 v4, v41, v4
	v_fma_f32 v61, 0xbeae86e6, v73, -v65
	v_add_f32_e32 v32, v14, v17
	s_delay_alu instid0(VALU_DEP_4)
	v_dual_add_f32 v36, v15, v26 :: v_dual_sub_f32 v41, v46, v49
	v_fmamk_f32 v38, v38, 0x3d64c772, v42
	v_fma_f32 v42, 0xbf3bfb3b, v62, -v42
	v_fma_f32 v62, 0xbeae86e6, v27, -v66
	v_fmac_f32_e32 v48, 0x3ee1c552, v28
	v_dual_fmac_f32 v50, 0x3ee1c552, v28 :: v_dual_add_f32 v33, v37, v26
	v_fmac_f32_e32 v47, 0x3ee1c552, v16
	s_delay_alu instid0(VALU_DEP_4)
	v_fmac_f32_e32 v62, 0x3ee1c552, v28
	v_add_f32_e32 v28, v31, v17
	v_add_f32_e32 v31, v35, v17
	v_fmac_f32_e32 v61, 0x3ee1c552, v16
	v_add_f32_e32 v64, v38, v8
	v_add_f32_e32 v8, v42, v8
	;; [unrolled: 1-line block ×3, first 2 shown]
	v_sub_f32_e32 v15, v36, v43
	v_add_f32_e32 v16, v40, v31
	v_dual_sub_f32 v17, v33, v39 :: v_dual_sub_f32 v26, v28, v18
	v_add_f32_e32 v27, v34, v30
	v_add_f32_e32 v28, v18, v28
	v_sub_f32_e32 v30, v31, v40
	v_dual_add_f32 v31, v39, v33 :: v_dual_sub_f32 v32, v32, v44
	v_dual_add_f32 v33, v43, v36 :: v_dual_add_f32 v34, v48, v63
	v_dual_sub_f32 v35, v64, v47 :: v_dual_add_f32 v36, v62, v4
	v_dual_sub_f32 v37, v8, v61 :: v_dual_sub_f32 v38, v45, v50
	v_dual_add_f32 v39, v49, v46 :: v_dual_add_f32 v40, v50, v45
	v_dual_sub_f32 v42, v4, v62 :: v_dual_add_f32 v43, v61, v8
	v_sub_f32_e32 v44, v63, v48
	v_add_f32_e32 v45, v47, v64
	ds_store_2addr_b64 v0, v[10:11], v[14:15] offset1:49
	ds_store_2addr_b64 v0, v[16:17], v[26:27] offset0:98 offset1:147
	ds_store_2addr_b64 v0, v[28:29], v[30:31] offset0:196 offset1:245
	;; [unrolled: 1-line block ×6, first 2 shown]
	v_add_co_u32 v10, s0, s8, v51
	s_wait_alu 0xf1ff
	v_add_co_ci_u32_e64 v11, s0, s9, v52, s0
	global_wb scope:SCOPE_SE
	s_wait_dscnt 0x0
	s_barrier_signal -1
	s_barrier_wait -1
	global_inv scope:SCOPE_SE
	s_clause 0x6
	global_load_b64 v[26:27], v[53:54], off offset:2688
	global_load_b64 v[28:29], v[55:56], off offset:2688
	;; [unrolled: 1-line block ×7, first 2 shown]
	ds_load_2addr_b64 v[10:13], v20 offset0:87 offset1:136
	ds_load_2addr_b64 v[14:17], v20 offset0:185 offset1:234
	v_lshl_add_u32 v4, v7, 3, 0
	v_lshl_add_u32 v54, v9, 3, 0
	ds_load_2addr_b32 v[7:8], v19 offset0:54 offset1:55
	ds_load_2addr_b64 v[18:21], v19 offset0:76 offset1:125
	ds_load_b64 v[40:41], v25
	ds_load_b64 v[42:43], v4
	;; [unrolled: 1-line block ×7, first 2 shown]
	global_wb scope:SCOPE_SE
	s_wait_loadcnt_dscnt 0x0
	s_barrier_signal -1
	s_barrier_wait -1
	global_inv scope:SCOPE_SE
	v_mul_f32_e32 v9, v27, v11
	v_mul_f32_e32 v27, v27, v10
	;; [unrolled: 1-line block ×3, first 2 shown]
	v_dual_mul_f32 v29, v29, v12 :: v_dual_mul_f32 v56, v31, v15
	v_mul_f32_e32 v31, v31, v14
	v_mul_f32_e32 v57, v33, v17
	v_dual_mul_f32 v33, v33, v16 :: v_dual_mul_f32 v58, v8, v35
	v_mul_f32_e32 v35, v35, v7
	v_mul_f32_e32 v59, v19, v37
	v_dual_mul_f32 v37, v18, v37 :: v_dual_mul_f32 v60, v21, v39
	v_mul_f32_e32 v39, v20, v39
	v_fma_f32 v9, v26, v10, -v9
	v_fmac_f32_e32 v27, v26, v11
	v_fma_f32 v10, v28, v12, -v55
	v_fmac_f32_e32 v29, v28, v13
	;; [unrolled: 2-line block ×7, first 2 shown]
	v_sub_f32_e32 v7, v46, v9
	v_dual_sub_f32 v17, v44, v17 :: v_dual_sub_f32 v8, v47, v27
	v_dual_sub_f32 v9, v40, v10 :: v_dual_sub_f32 v10, v41, v29
	v_sub_f32_e32 v11, v48, v11
	v_dual_sub_f32 v12, v49, v31 :: v_dual_sub_f32 v13, v42, v13
	v_dual_sub_f32 v14, v43, v33 :: v_dual_sub_f32 v15, v50, v15
	v_sub_f32_e32 v16, v51, v35
	v_dual_sub_f32 v18, v45, v37 :: v_dual_sub_f32 v19, v52, v19
	v_sub_f32_e32 v20, v53, v39
	v_fma_f32 v26, v46, 2.0, -v7
	v_fma_f32 v27, v47, 2.0, -v8
	;; [unrolled: 1-line block ×14, first 2 shown]
	ds_store_b64 v0, v[26:27]
	ds_store_b64 v0, v[7:8] offset:2744
	ds_store_b64 v25, v[28:29]
	ds_store_b64 v25, v[9:10] offset:2744
	;; [unrolled: 2-line block ×7, first 2 shown]
	global_wb scope:SCOPE_SE
	s_wait_dscnt 0x0
	s_barrier_signal -1
	s_barrier_wait -1
	global_inv scope:SCOPE_SE
	s_and_saveexec_b32 s0, vcc_lo
	s_cbranch_execz .LBB0_15
; %bb.14:
	v_mad_co_u64_u32 v[8:9], null, s16, v3, 0
	v_mul_lo_u32 v7, s3, v5
	v_mul_lo_u32 v6, s2, v6
	v_mad_co_u64_u32 v[4:5], null, s2, v5, 0
	v_add_nc_u32_e32 v16, 49, v3
	v_lshl_add_u32 v28, v3, 3, 0
	v_mov_b32_e32 v0, v9
	v_add_nc_u32_e32 v18, 0x62, v3
	v_add_nc_u32_e32 v25, 0xf5, v3
	v_mad_co_u64_u32 v[12:13], null, s16, v16, 0
	v_add3_u32 v5, v5, v6, v7
	v_mad_co_u64_u32 v[9:10], null, s17, v3, v[0:1]
	v_lshlrev_b64_e32 v[0:1], 3, v[1:2]
	v_mad_co_u64_u32 v[14:15], null, s16, v18, 0
	s_delay_alu instid0(VALU_DEP_4)
	v_lshlrev_b64_e32 v[10:11], 3, v[4:5]
	ds_load_2addr_b64 v[4:7], v28 offset1:49
	v_dual_mov_b32 v2, v13 :: v_dual_add_nc_u32 v27, 0x126, v3
	v_add_nc_u32_e32 v31, 0x21b, v3
	v_add_co_u32 v10, vcc_lo, s6, v10
	s_wait_alu 0xfffd
	v_add_co_ci_u32_e32 v11, vcc_lo, s7, v11, vcc_lo
	v_mad_co_u64_u32 v[23:24], null, s16, v27, 0
	s_delay_alu instid0(VALU_DEP_3) | instskip(SKIP_1) | instid1(VALU_DEP_3)
	v_add_co_u32 v29, vcc_lo, v10, v0
	s_wait_alu 0xfffd
	v_add_co_ci_u32_e32 v30, vcc_lo, v11, v1, vcc_lo
	v_lshlrev_b64_e32 v[0:1], 3, v[8:9]
	v_mad_co_u64_u32 v[8:9], null, s17, v16, v[2:3]
	v_dual_mov_b32 v2, v15 :: v_dual_add_nc_u32 v11, 0x93, v3
	s_delay_alu instid0(VALU_DEP_3) | instskip(SKIP_1) | instid1(VALU_DEP_4)
	v_add_co_u32 v0, vcc_lo, v29, v0
	s_wait_alu 0xfffd
	v_add_co_ci_u32_e32 v1, vcc_lo, v30, v1, vcc_lo
	s_delay_alu instid0(VALU_DEP_3)
	v_mad_co_u64_u32 v[16:17], null, s16, v11, 0
	v_mad_co_u64_u32 v[9:10], null, s17, v18, v[2:3]
	v_add_nc_u32_e32 v18, 0xc4, v3
	s_wait_dscnt 0x0
	global_store_b64 v[0:1], v[4:5], off
	v_dual_mov_b32 v13, v8 :: v_dual_mov_b32 v2, v17
	v_mad_co_u64_u32 v[4:5], null, s16, v18, 0
	v_mov_b32_e32 v15, v9
	s_delay_alu instid0(VALU_DEP_3) | instskip(NEXT) | instid1(VALU_DEP_4)
	v_lshlrev_b64_e32 v[0:1], 3, v[12:13]
	v_mad_co_u64_u32 v[12:13], null, s17, v11, v[2:3]
	ds_load_2addr_b64 v[8:11], v28 offset0:98 offset1:147
	v_lshlrev_b64_e32 v[13:14], 3, v[14:15]
	v_mov_b32_e32 v2, v5
	v_add_co_u32 v0, vcc_lo, v29, v0
	s_wait_alu 0xfffd
	v_add_co_ci_u32_e32 v1, vcc_lo, v30, v1, vcc_lo
	s_delay_alu instid0(VALU_DEP_3)
	v_mad_co_u64_u32 v[18:19], null, s17, v18, v[2:3]
	v_add_co_u32 v21, vcc_lo, v29, v13
	v_mov_b32_e32 v17, v12
	s_wait_alu 0xfffd
	v_add_co_ci_u32_e32 v22, vcc_lo, v30, v14, vcc_lo
	ds_load_2addr_b64 v[12:15], v28 offset0:196 offset1:245
	v_mov_b32_e32 v5, v18
	v_mad_co_u64_u32 v[19:20], null, s16, v25, 0
	v_lshlrev_b64_e32 v[16:17], 3, v[16:17]
	v_add_nc_u32_e32 v18, 0x157, v3
	s_delay_alu instid0(VALU_DEP_4) | instskip(NEXT) | instid1(VALU_DEP_3)
	v_lshlrev_b64_e32 v[4:5], 3, v[4:5]
	v_add_co_u32 v16, vcc_lo, v29, v16
	v_mov_b32_e32 v2, v20
	s_wait_alu 0xfffd
	v_add_co_ci_u32_e32 v17, vcc_lo, v30, v17, vcc_lo
	s_delay_alu instid0(VALU_DEP_4)
	v_add_co_u32 v4, vcc_lo, v29, v4
	s_wait_alu 0xfffd
	v_add_co_ci_u32_e32 v5, vcc_lo, v30, v5, vcc_lo
	global_store_b64 v[0:1], v[6:7], off
	s_wait_dscnt 0x1
	s_clause 0x1
	global_store_b64 v[21:22], v[8:9], off
	global_store_b64 v[16:17], v[10:11], off
	s_wait_dscnt 0x0
	global_store_b64 v[4:5], v[12:13], off
	v_add_nc_u32_e32 v11, 0x188, v3
	v_mad_co_u64_u32 v[25:26], null, s17, v25, v[2:3]
	v_mov_b32_e32 v2, v24
	s_delay_alu instid0(VALU_DEP_3) | instskip(NEXT) | instid1(VALU_DEP_3)
	v_mad_co_u64_u32 v[12:13], null, s16, v11, 0
	v_mov_b32_e32 v20, v25
	s_delay_alu instid0(VALU_DEP_3) | instskip(SKIP_4) | instid1(VALU_DEP_1)
	v_mad_co_u64_u32 v[24:25], null, s17, v27, v[2:3]
	v_mad_co_u64_u32 v[25:26], null, s16, v18, 0
	v_add_nc_u32_e32 v27, 0x800, v28
	ds_load_2addr_b64 v[4:7], v27 offset0:38 offset1:87
	v_mov_b32_e32 v2, v26
	v_mad_co_u64_u32 v[8:9], null, s17, v18, v[2:3]
	v_mov_b32_e32 v2, v13
	v_lshlrev_b64_e32 v[9:10], 3, v[23:24]
	v_add_nc_u32_e32 v23, 0x1b9, v3
	v_lshlrev_b64_e32 v[0:1], 3, v[19:20]
	s_delay_alu instid0(VALU_DEP_4) | instskip(NEXT) | instid1(VALU_DEP_3)
	v_mad_co_u64_u32 v[16:17], null, s17, v11, v[2:3]
	v_mad_co_u64_u32 v[17:18], null, s16, v23, 0
	s_delay_alu instid0(VALU_DEP_3) | instskip(SKIP_1) | instid1(VALU_DEP_4)
	v_add_co_u32 v0, vcc_lo, v29, v0
	s_wait_alu 0xfffd
	v_add_co_ci_u32_e32 v1, vcc_lo, v30, v1, vcc_lo
	v_add_co_u32 v21, vcc_lo, v29, v9
	s_delay_alu instid0(VALU_DEP_4)
	v_mov_b32_e32 v2, v18
	v_mov_b32_e32 v26, v8
	s_wait_alu 0xfffd
	v_add_co_ci_u32_e32 v22, vcc_lo, v30, v10, vcc_lo
	v_mov_b32_e32 v13, v16
	v_mad_co_u64_u32 v[23:24], null, s17, v23, v[2:3]
	ds_load_2addr_b64 v[8:11], v27 offset0:136 offset1:185
	v_add_nc_u32_e32 v16, 0x1ea, v3
	v_lshlrev_b64_e32 v[19:20], 3, v[25:26]
	v_lshlrev_b64_e32 v[12:13], 3, v[12:13]
	global_store_b64 v[0:1], v[14:15], off
	v_mad_co_u64_u32 v[26:27], null, s16, v31, 0
	v_mad_co_u64_u32 v[24:25], null, s16, v16, 0
	v_mov_b32_e32 v18, v23
	v_add_co_u32 v19, vcc_lo, v29, v19
	s_wait_alu 0xfffd
	v_add_co_ci_u32_e32 v20, vcc_lo, v30, v20, vcc_lo
	s_delay_alu instid0(VALU_DEP_3)
	v_lshlrev_b64_e32 v[1:2], 3, v[17:18]
	v_add_co_u32 v12, vcc_lo, v29, v12
	v_mov_b32_e32 v0, v25
	s_wait_alu 0xfffd
	v_add_co_ci_u32_e32 v13, vcc_lo, v30, v13, vcc_lo
	s_wait_dscnt 0x1
	s_clause 0x1
	global_store_b64 v[21:22], v[4:5], off
	global_store_b64 v[19:20], v[6:7], off
	s_wait_dscnt 0x0
	global_store_b64 v[12:13], v[8:9], off
	v_mad_co_u64_u32 v[5:6], null, s17, v16, v[0:1]
	v_dual_mov_b32 v4, v27 :: v_dual_add_nc_u32 v17, 0x24c, v3
	v_add_co_u32 v12, vcc_lo, v29, v1
	v_add_nc_u32_e32 v1, 0xc00, v28
	s_wait_alu 0xfffd
	v_add_co_ci_u32_e32 v13, vcc_lo, v30, v2, vcc_lo
	v_mad_co_u64_u32 v[6:7], null, s17, v31, v[4:5]
	v_mad_co_u64_u32 v[8:9], null, s16, v17, 0
	v_add_nc_u32_e32 v7, 0x27d, v3
	v_mov_b32_e32 v25, v5
	s_delay_alu instid0(VALU_DEP_4) | instskip(NEXT) | instid1(VALU_DEP_3)
	v_mov_b32_e32 v27, v6
	v_mad_co_u64_u32 v[14:15], null, s16, v7, 0
	v_mov_b32_e32 v0, v9
	v_add_nc_u32_e32 v6, 0x1000, v28
	s_delay_alu instid0(VALU_DEP_2) | instskip(NEXT) | instid1(VALU_DEP_4)
	v_mad_co_u64_u32 v[4:5], null, s17, v17, v[0:1]
	v_mov_b32_e32 v5, v15
	v_lshlrev_b64_e32 v[15:16], 3, v[24:25]
	ds_load_2addr_b64 v[0:3], v1 offset0:106 offset1:155
	v_lshlrev_b64_e32 v[17:18], 3, v[26:27]
	v_mad_co_u64_u32 v[19:20], null, s17, v7, v[5:6]
	v_mov_b32_e32 v9, v4
	ds_load_2addr_b64 v[4:7], v6 offset0:76 offset1:125
	v_add_co_u32 v20, vcc_lo, v29, v15
	s_wait_alu 0xfffd
	v_add_co_ci_u32_e32 v21, vcc_lo, v30, v16, vcc_lo
	v_mov_b32_e32 v15, v19
	v_lshlrev_b64_e32 v[8:9], 3, v[8:9]
	v_add_co_u32 v16, vcc_lo, v29, v17
	s_wait_alu 0xfffd
	v_add_co_ci_u32_e32 v17, vcc_lo, v30, v18, vcc_lo
	v_lshlrev_b64_e32 v[14:15], 3, v[14:15]
	s_delay_alu instid0(VALU_DEP_4) | instskip(SKIP_2) | instid1(VALU_DEP_3)
	v_add_co_u32 v8, vcc_lo, v29, v8
	s_wait_alu 0xfffd
	v_add_co_ci_u32_e32 v9, vcc_lo, v30, v9, vcc_lo
	v_add_co_u32 v14, vcc_lo, v29, v14
	s_wait_alu 0xfffd
	v_add_co_ci_u32_e32 v15, vcc_lo, v30, v15, vcc_lo
	global_store_b64 v[12:13], v[10:11], off
	s_wait_dscnt 0x1
	s_clause 0x1
	global_store_b64 v[20:21], v[0:1], off
	global_store_b64 v[16:17], v[2:3], off
	s_wait_dscnt 0x0
	s_clause 0x1
	global_store_b64 v[8:9], v[4:5], off
	global_store_b64 v[14:15], v[6:7], off
.LBB0_15:
	s_nop 0
	s_sendmsg sendmsg(MSG_DEALLOC_VGPRS)
	s_endpgm
	.section	.rodata,"a",@progbits
	.p2align	6, 0x0
	.amdhsa_kernel fft_rtc_fwd_len686_factors_7_7_7_2_wgs_49_tpt_49_sp_op_CI_CI_sbrr_dirReg
		.amdhsa_group_segment_fixed_size 0
		.amdhsa_private_segment_fixed_size 0
		.amdhsa_kernarg_size 104
		.amdhsa_user_sgpr_count 2
		.amdhsa_user_sgpr_dispatch_ptr 0
		.amdhsa_user_sgpr_queue_ptr 0
		.amdhsa_user_sgpr_kernarg_segment_ptr 1
		.amdhsa_user_sgpr_dispatch_id 0
		.amdhsa_user_sgpr_private_segment_size 0
		.amdhsa_wavefront_size32 1
		.amdhsa_uses_dynamic_stack 0
		.amdhsa_enable_private_segment 0
		.amdhsa_system_sgpr_workgroup_id_x 1
		.amdhsa_system_sgpr_workgroup_id_y 0
		.amdhsa_system_sgpr_workgroup_id_z 0
		.amdhsa_system_sgpr_workgroup_info 0
		.amdhsa_system_vgpr_workitem_id 0
		.amdhsa_next_free_vgpr 90
		.amdhsa_next_free_sgpr 43
		.amdhsa_reserve_vcc 1
		.amdhsa_float_round_mode_32 0
		.amdhsa_float_round_mode_16_64 0
		.amdhsa_float_denorm_mode_32 3
		.amdhsa_float_denorm_mode_16_64 3
		.amdhsa_fp16_overflow 0
		.amdhsa_workgroup_processor_mode 1
		.amdhsa_memory_ordered 1
		.amdhsa_forward_progress 0
		.amdhsa_round_robin_scheduling 0
		.amdhsa_exception_fp_ieee_invalid_op 0
		.amdhsa_exception_fp_denorm_src 0
		.amdhsa_exception_fp_ieee_div_zero 0
		.amdhsa_exception_fp_ieee_overflow 0
		.amdhsa_exception_fp_ieee_underflow 0
		.amdhsa_exception_fp_ieee_inexact 0
		.amdhsa_exception_int_div_zero 0
	.end_amdhsa_kernel
	.text
.Lfunc_end0:
	.size	fft_rtc_fwd_len686_factors_7_7_7_2_wgs_49_tpt_49_sp_op_CI_CI_sbrr_dirReg, .Lfunc_end0-fft_rtc_fwd_len686_factors_7_7_7_2_wgs_49_tpt_49_sp_op_CI_CI_sbrr_dirReg
                                        ; -- End function
	.section	.AMDGPU.csdata,"",@progbits
; Kernel info:
; codeLenInByte = 9144
; NumSgprs: 45
; NumVgprs: 90
; ScratchSize: 0
; MemoryBound: 0
; FloatMode: 240
; IeeeMode: 1
; LDSByteSize: 0 bytes/workgroup (compile time only)
; SGPRBlocks: 5
; VGPRBlocks: 11
; NumSGPRsForWavesPerEU: 45
; NumVGPRsForWavesPerEU: 90
; Occupancy: 16
; WaveLimiterHint : 1
; COMPUTE_PGM_RSRC2:SCRATCH_EN: 0
; COMPUTE_PGM_RSRC2:USER_SGPR: 2
; COMPUTE_PGM_RSRC2:TRAP_HANDLER: 0
; COMPUTE_PGM_RSRC2:TGID_X_EN: 1
; COMPUTE_PGM_RSRC2:TGID_Y_EN: 0
; COMPUTE_PGM_RSRC2:TGID_Z_EN: 0
; COMPUTE_PGM_RSRC2:TIDIG_COMP_CNT: 0
	.text
	.p2alignl 7, 3214868480
	.fill 96, 4, 3214868480
	.type	__hip_cuid_19605253e885f97f,@object ; @__hip_cuid_19605253e885f97f
	.section	.bss,"aw",@nobits
	.globl	__hip_cuid_19605253e885f97f
__hip_cuid_19605253e885f97f:
	.byte	0                               ; 0x0
	.size	__hip_cuid_19605253e885f97f, 1

	.ident	"AMD clang version 19.0.0git (https://github.com/RadeonOpenCompute/llvm-project roc-6.4.0 25133 c7fe45cf4b819c5991fe208aaa96edf142730f1d)"
	.section	".note.GNU-stack","",@progbits
	.addrsig
	.addrsig_sym __hip_cuid_19605253e885f97f
	.amdgpu_metadata
---
amdhsa.kernels:
  - .args:
      - .actual_access:  read_only
        .address_space:  global
        .offset:         0
        .size:           8
        .value_kind:     global_buffer
      - .offset:         8
        .size:           8
        .value_kind:     by_value
      - .actual_access:  read_only
        .address_space:  global
        .offset:         16
        .size:           8
        .value_kind:     global_buffer
      - .actual_access:  read_only
        .address_space:  global
        .offset:         24
        .size:           8
        .value_kind:     global_buffer
      - .actual_access:  read_only
        .address_space:  global
        .offset:         32
        .size:           8
        .value_kind:     global_buffer
      - .offset:         40
        .size:           8
        .value_kind:     by_value
      - .actual_access:  read_only
        .address_space:  global
        .offset:         48
        .size:           8
        .value_kind:     global_buffer
      - .actual_access:  read_only
        .address_space:  global
        .offset:         56
        .size:           8
        .value_kind:     global_buffer
      - .offset:         64
        .size:           4
        .value_kind:     by_value
      - .actual_access:  read_only
        .address_space:  global
        .offset:         72
        .size:           8
        .value_kind:     global_buffer
      - .actual_access:  read_only
        .address_space:  global
        .offset:         80
        .size:           8
        .value_kind:     global_buffer
      - .actual_access:  read_only
        .address_space:  global
        .offset:         88
        .size:           8
        .value_kind:     global_buffer
      - .actual_access:  write_only
        .address_space:  global
        .offset:         96
        .size:           8
        .value_kind:     global_buffer
    .group_segment_fixed_size: 0
    .kernarg_segment_align: 8
    .kernarg_segment_size: 104
    .language:       OpenCL C
    .language_version:
      - 2
      - 0
    .max_flat_workgroup_size: 49
    .name:           fft_rtc_fwd_len686_factors_7_7_7_2_wgs_49_tpt_49_sp_op_CI_CI_sbrr_dirReg
    .private_segment_fixed_size: 0
    .sgpr_count:     45
    .sgpr_spill_count: 0
    .symbol:         fft_rtc_fwd_len686_factors_7_7_7_2_wgs_49_tpt_49_sp_op_CI_CI_sbrr_dirReg.kd
    .uniform_work_group_size: 1
    .uses_dynamic_stack: false
    .vgpr_count:     90
    .vgpr_spill_count: 0
    .wavefront_size: 32
    .workgroup_processor_mode: 1
amdhsa.target:   amdgcn-amd-amdhsa--gfx1201
amdhsa.version:
  - 1
  - 2
...

	.end_amdgpu_metadata
